;; amdgpu-corpus repo=ROCm/rocFFT kind=compiled arch=gfx906 opt=O3
	.text
	.amdgcn_target "amdgcn-amd-amdhsa--gfx906"
	.amdhsa_code_object_version 6
	.protected	fft_rtc_fwd_len784_factors_2_2_2_2_7_7_wgs_56_tpt_56_halfLds_sp_ip_CI_unitstride_sbrr_dirReg ; -- Begin function fft_rtc_fwd_len784_factors_2_2_2_2_7_7_wgs_56_tpt_56_halfLds_sp_ip_CI_unitstride_sbrr_dirReg
	.globl	fft_rtc_fwd_len784_factors_2_2_2_2_7_7_wgs_56_tpt_56_halfLds_sp_ip_CI_unitstride_sbrr_dirReg
	.p2align	8
	.type	fft_rtc_fwd_len784_factors_2_2_2_2_7_7_wgs_56_tpt_56_halfLds_sp_ip_CI_unitstride_sbrr_dirReg,@function
fft_rtc_fwd_len784_factors_2_2_2_2_7_7_wgs_56_tpt_56_halfLds_sp_ip_CI_unitstride_sbrr_dirReg: ; @fft_rtc_fwd_len784_factors_2_2_2_2_7_7_wgs_56_tpt_56_halfLds_sp_ip_CI_unitstride_sbrr_dirReg
; %bb.0:
	s_load_dwordx2 s[2:3], s[4:5], 0x50
	s_load_dwordx4 s[8:11], s[4:5], 0x0
	s_load_dwordx2 s[12:13], s[4:5], 0x18
	v_mul_u32_u24_e32 v1, 0x493, v0
	v_add_u32_sdwa v5, s6, v1 dst_sel:DWORD dst_unused:UNUSED_PAD src0_sel:DWORD src1_sel:WORD_1
	v_mov_b32_e32 v3, 0
	s_waitcnt lgkmcnt(0)
	v_cmp_lt_u64_e64 s[0:1], s[10:11], 2
	v_mov_b32_e32 v1, 0
	v_mov_b32_e32 v6, v3
	s_and_b64 vcc, exec, s[0:1]
	v_mov_b32_e32 v2, 0
	s_cbranch_vccnz .LBB0_8
; %bb.1:
	s_load_dwordx2 s[0:1], s[4:5], 0x10
	s_add_u32 s6, s12, 8
	s_addc_u32 s7, s13, 0
	v_mov_b32_e32 v1, 0
	v_mov_b32_e32 v2, 0
	s_waitcnt lgkmcnt(0)
	s_add_u32 s14, s0, 8
	s_addc_u32 s15, s1, 0
	s_mov_b64 s[16:17], 1
.LBB0_2:                                ; =>This Inner Loop Header: Depth=1
	s_load_dwordx2 s[18:19], s[14:15], 0x0
                                        ; implicit-def: $vgpr7_vgpr8
	s_waitcnt lgkmcnt(0)
	v_or_b32_e32 v4, s19, v6
	v_cmp_ne_u64_e32 vcc, 0, v[3:4]
	s_and_saveexec_b64 s[0:1], vcc
	s_xor_b64 s[20:21], exec, s[0:1]
	s_cbranch_execz .LBB0_4
; %bb.3:                                ;   in Loop: Header=BB0_2 Depth=1
	v_cvt_f32_u32_e32 v4, s18
	v_cvt_f32_u32_e32 v7, s19
	s_sub_u32 s0, 0, s18
	s_subb_u32 s1, 0, s19
	v_mac_f32_e32 v4, 0x4f800000, v7
	v_rcp_f32_e32 v4, v4
	v_mul_f32_e32 v4, 0x5f7ffffc, v4
	v_mul_f32_e32 v7, 0x2f800000, v4
	v_trunc_f32_e32 v7, v7
	v_mac_f32_e32 v4, 0xcf800000, v7
	v_cvt_u32_f32_e32 v7, v7
	v_cvt_u32_f32_e32 v4, v4
	v_mul_lo_u32 v8, s0, v7
	v_mul_hi_u32 v9, s0, v4
	v_mul_lo_u32 v11, s1, v4
	v_mul_lo_u32 v10, s0, v4
	v_add_u32_e32 v8, v9, v8
	v_add_u32_e32 v8, v8, v11
	v_mul_hi_u32 v9, v4, v10
	v_mul_lo_u32 v11, v4, v8
	v_mul_hi_u32 v13, v4, v8
	v_mul_hi_u32 v12, v7, v10
	v_mul_lo_u32 v10, v7, v10
	v_mul_hi_u32 v14, v7, v8
	v_add_co_u32_e32 v9, vcc, v9, v11
	v_addc_co_u32_e32 v11, vcc, 0, v13, vcc
	v_mul_lo_u32 v8, v7, v8
	v_add_co_u32_e32 v9, vcc, v9, v10
	v_addc_co_u32_e32 v9, vcc, v11, v12, vcc
	v_addc_co_u32_e32 v10, vcc, 0, v14, vcc
	v_add_co_u32_e32 v8, vcc, v9, v8
	v_addc_co_u32_e32 v9, vcc, 0, v10, vcc
	v_add_co_u32_e32 v4, vcc, v4, v8
	v_addc_co_u32_e32 v7, vcc, v7, v9, vcc
	v_mul_lo_u32 v8, s0, v7
	v_mul_hi_u32 v9, s0, v4
	v_mul_lo_u32 v10, s1, v4
	v_mul_lo_u32 v11, s0, v4
	v_add_u32_e32 v8, v9, v8
	v_add_u32_e32 v8, v8, v10
	v_mul_lo_u32 v12, v4, v8
	v_mul_hi_u32 v13, v4, v11
	v_mul_hi_u32 v14, v4, v8
	;; [unrolled: 1-line block ×3, first 2 shown]
	v_mul_lo_u32 v11, v7, v11
	v_mul_hi_u32 v9, v7, v8
	v_add_co_u32_e32 v12, vcc, v13, v12
	v_addc_co_u32_e32 v13, vcc, 0, v14, vcc
	v_mul_lo_u32 v8, v7, v8
	v_add_co_u32_e32 v11, vcc, v12, v11
	v_addc_co_u32_e32 v10, vcc, v13, v10, vcc
	v_addc_co_u32_e32 v9, vcc, 0, v9, vcc
	v_add_co_u32_e32 v8, vcc, v10, v8
	v_addc_co_u32_e32 v9, vcc, 0, v9, vcc
	v_add_co_u32_e32 v4, vcc, v4, v8
	v_addc_co_u32_e32 v9, vcc, v7, v9, vcc
	v_mad_u64_u32 v[7:8], s[0:1], v5, v9, 0
	v_mul_hi_u32 v10, v5, v4
	v_add_co_u32_e32 v11, vcc, v10, v7
	v_addc_co_u32_e32 v12, vcc, 0, v8, vcc
	v_mad_u64_u32 v[7:8], s[0:1], v6, v4, 0
	v_mad_u64_u32 v[9:10], s[0:1], v6, v9, 0
	v_add_co_u32_e32 v4, vcc, v11, v7
	v_addc_co_u32_e32 v4, vcc, v12, v8, vcc
	v_addc_co_u32_e32 v7, vcc, 0, v10, vcc
	v_add_co_u32_e32 v4, vcc, v4, v9
	v_addc_co_u32_e32 v9, vcc, 0, v7, vcc
	v_mul_lo_u32 v10, s19, v4
	v_mul_lo_u32 v11, s18, v9
	v_mad_u64_u32 v[7:8], s[0:1], s18, v4, 0
	v_add3_u32 v8, v8, v11, v10
	v_sub_u32_e32 v10, v6, v8
	v_mov_b32_e32 v11, s19
	v_sub_co_u32_e32 v7, vcc, v5, v7
	v_subb_co_u32_e64 v10, s[0:1], v10, v11, vcc
	v_subrev_co_u32_e64 v11, s[0:1], s18, v7
	v_subbrev_co_u32_e64 v10, s[0:1], 0, v10, s[0:1]
	v_cmp_le_u32_e64 s[0:1], s19, v10
	v_cndmask_b32_e64 v12, 0, -1, s[0:1]
	v_cmp_le_u32_e64 s[0:1], s18, v11
	v_cndmask_b32_e64 v11, 0, -1, s[0:1]
	v_cmp_eq_u32_e64 s[0:1], s19, v10
	v_cndmask_b32_e64 v10, v12, v11, s[0:1]
	v_add_co_u32_e64 v11, s[0:1], 2, v4
	v_addc_co_u32_e64 v12, s[0:1], 0, v9, s[0:1]
	v_add_co_u32_e64 v13, s[0:1], 1, v4
	v_addc_co_u32_e64 v14, s[0:1], 0, v9, s[0:1]
	v_subb_co_u32_e32 v8, vcc, v6, v8, vcc
	v_cmp_ne_u32_e64 s[0:1], 0, v10
	v_cmp_le_u32_e32 vcc, s19, v8
	v_cndmask_b32_e64 v10, v14, v12, s[0:1]
	v_cndmask_b32_e64 v12, 0, -1, vcc
	v_cmp_le_u32_e32 vcc, s18, v7
	v_cndmask_b32_e64 v7, 0, -1, vcc
	v_cmp_eq_u32_e32 vcc, s19, v8
	v_cndmask_b32_e32 v7, v12, v7, vcc
	v_cmp_ne_u32_e32 vcc, 0, v7
	v_cndmask_b32_e64 v7, v13, v11, s[0:1]
	v_cndmask_b32_e32 v8, v9, v10, vcc
	v_cndmask_b32_e32 v7, v4, v7, vcc
.LBB0_4:                                ;   in Loop: Header=BB0_2 Depth=1
	s_andn2_saveexec_b64 s[0:1], s[20:21]
	s_cbranch_execz .LBB0_6
; %bb.5:                                ;   in Loop: Header=BB0_2 Depth=1
	v_cvt_f32_u32_e32 v4, s18
	s_sub_i32 s20, 0, s18
	v_rcp_iflag_f32_e32 v4, v4
	v_mul_f32_e32 v4, 0x4f7ffffe, v4
	v_cvt_u32_f32_e32 v4, v4
	v_mul_lo_u32 v7, s20, v4
	v_mul_hi_u32 v7, v4, v7
	v_add_u32_e32 v4, v4, v7
	v_mul_hi_u32 v4, v5, v4
	v_mul_lo_u32 v7, v4, s18
	v_add_u32_e32 v8, 1, v4
	v_sub_u32_e32 v7, v5, v7
	v_subrev_u32_e32 v9, s18, v7
	v_cmp_le_u32_e32 vcc, s18, v7
	v_cndmask_b32_e32 v7, v7, v9, vcc
	v_cndmask_b32_e32 v4, v4, v8, vcc
	v_add_u32_e32 v8, 1, v4
	v_cmp_le_u32_e32 vcc, s18, v7
	v_cndmask_b32_e32 v7, v4, v8, vcc
	v_mov_b32_e32 v8, v3
.LBB0_6:                                ;   in Loop: Header=BB0_2 Depth=1
	s_or_b64 exec, exec, s[0:1]
	v_mul_lo_u32 v4, v8, s18
	v_mul_lo_u32 v11, v7, s19
	v_mad_u64_u32 v[9:10], s[0:1], v7, s18, 0
	s_load_dwordx2 s[0:1], s[6:7], 0x0
	s_add_u32 s16, s16, 1
	v_add3_u32 v4, v10, v11, v4
	v_sub_co_u32_e32 v5, vcc, v5, v9
	v_subb_co_u32_e32 v4, vcc, v6, v4, vcc
	s_waitcnt lgkmcnt(0)
	v_mul_lo_u32 v4, s0, v4
	v_mul_lo_u32 v6, s1, v5
	v_mad_u64_u32 v[1:2], s[0:1], s0, v5, v[1:2]
	s_addc_u32 s17, s17, 0
	s_add_u32 s6, s6, 8
	v_add3_u32 v2, v6, v2, v4
	v_mov_b32_e32 v4, s10
	v_mov_b32_e32 v5, s11
	s_addc_u32 s7, s7, 0
	v_cmp_ge_u64_e32 vcc, s[16:17], v[4:5]
	s_add_u32 s14, s14, 8
	s_addc_u32 s15, s15, 0
	s_cbranch_vccnz .LBB0_9
; %bb.7:                                ;   in Loop: Header=BB0_2 Depth=1
	v_mov_b32_e32 v5, v7
	v_mov_b32_e32 v6, v8
	s_branch .LBB0_2
.LBB0_8:
	v_mov_b32_e32 v8, v6
	v_mov_b32_e32 v7, v5
.LBB0_9:
	s_lshl_b64 s[0:1], s[10:11], 3
	s_add_u32 s0, s12, s0
	s_addc_u32 s1, s13, s1
	s_load_dwordx2 s[6:7], s[0:1], 0x0
	s_load_dwordx2 s[10:11], s[4:5], 0x20
	v_mov_b32_e32 v28, 0
	v_mov_b32_e32 v29, 0
	;; [unrolled: 1-line block ×3, first 2 shown]
	s_waitcnt lgkmcnt(0)
	v_mad_u64_u32 v[1:2], s[0:1], s6, v7, v[1:2]
	s_mov_b32 s0, 0x4924925
	v_mul_lo_u32 v3, s6, v8
	v_mul_lo_u32 v4, s7, v7
	v_mul_hi_u32 v5, v0, s0
	v_cmp_gt_u64_e32 vcc, s[10:11], v[7:8]
	v_mov_b32_e32 v6, v28
	v_add3_u32 v2, v4, v2, v3
	v_mul_u32_u24_e32 v3, 56, v5
	v_sub_u32_e32 v0, v0, v3
	v_lshlrev_b64 v[2:3], 3, v[1:2]
	v_mov_b32_e32 v4, v28
	v_mov_b32_e32 v8, v28
	;; [unrolled: 1-line block ×10, first 2 shown]
                                        ; implicit-def: $vgpr31
                                        ; implicit-def: $vgpr21
                                        ; implicit-def: $vgpr15
                                        ; implicit-def: $vgpr11
                                        ; implicit-def: $vgpr13
                                        ; implicit-def: $vgpr25
                                        ; implicit-def: $vgpr27
	s_and_saveexec_b64 s[4:5], vcc
	s_cbranch_execz .LBB0_11
; %bb.10:
	v_mov_b32_e32 v1, 0
	v_mov_b32_e32 v4, s3
	v_add_co_u32_e64 v6, s[0:1], s2, v2
	v_addc_co_u32_e64 v7, s[0:1], v4, v3, s[0:1]
	v_lshlrev_b64 v[4:5], 3, v[0:1]
	v_add_co_u32_e64 v32, s[0:1], v6, v4
	v_addc_co_u32_e64 v33, s[0:1], v7, v5, s[0:1]
	s_movk_i32 s0, 0x1000
	v_add_co_u32_e64 v34, s[0:1], s0, v32
	global_load_dwordx2 v[28:29], v[32:33], off
	global_load_dwordx2 v[4:5], v[32:33], off offset:448
	global_load_dwordx2 v[6:7], v[32:33], off offset:896
	global_load_dwordx2 v[8:9], v[32:33], off offset:1344
	v_addc_co_u32_e64 v35, s[0:1], 0, v33, s[0:1]
	global_load_dwordx2 v[16:17], v[32:33], off offset:1792
	global_load_dwordx2 v[18:19], v[32:33], off offset:2240
	;; [unrolled: 1-line block ×10, first 2 shown]
.LBB0_11:
	s_or_b64 exec, exec, s[4:5]
	s_waitcnt vmcnt(7)
	v_sub_f32_e32 v32, v28, v30
	v_sub_f32_e32 v30, v29, v31
	v_fma_f32 v31, v28, 2.0, -v32
	v_lshl_add_u32 v28, v0, 3, 0
	ds_write_b64 v28, v[31:32]
	s_waitcnt vmcnt(5)
	v_sub_f32_e32 v32, v4, v26
	v_add_u32_e32 v26, 56, v0
	v_fma_f32 v31, v4, 2.0, -v32
	v_lshl_add_u32 v4, v26, 3, 0
	ds_write_b64 v4, v[31:32]
	s_waitcnt vmcnt(4)
	v_sub_f32_e32 v32, v6, v24
	v_add_u32_e32 v24, 0x70, v0
	;; [unrolled: 6-line block ×6, first 2 shown]
	v_lshlrev_b32_e32 v1, 2, v0
	v_sub_f32_e32 v6, v5, v27
	v_fma_f32 v31, v22, 2.0, -v32
	v_lshl_add_u32 v48, v12, 3, 0
	v_sub_u32_e32 v1, v28, v1
	v_fma_f32 v5, v5, 2.0, -v6
	ds_write_b64 v48, v[31:32]
	s_waitcnt lgkmcnt(0)
	; wave barrier
	s_waitcnt lgkmcnt(0)
	v_add_u32_e32 v20, 0x400, v1
	v_add_u32_e32 v18, 0x800, v1
	;; [unrolled: 1-line block ×3, first 2 shown]
	ds_read2_b32 v[31:32], v1 offset1:56
	ds_read2_b32 v[33:34], v20 offset0:80 offset1:136
	ds_read2_b32 v[35:36], v20 offset0:192 offset1:248
	;; [unrolled: 1-line block ×6, first 2 shown]
	s_waitcnt lgkmcnt(0)
	; wave barrier
	s_waitcnt lgkmcnt(0)
	ds_write_b64 v4, v[5:6]
	v_sub_f32_e32 v5, v7, v25
	v_fma_f32 v4, v7, 2.0, -v5
	ds_write_b64 v45, v[4:5]
	v_sub_f32_e32 v5, v9, v21
	v_fma_f32 v4, v9, 2.0, -v5
	;; [unrolled: 3-line block ×4, first 2 shown]
	v_fma_f32 v4, v19, 2.0, -v5
	v_sub_f32_e32 v7, v23, v13
	v_and_b32_e32 v11, 1, v0
	ds_write_b64 v28, v[29:30]
	v_fma_f32 v6, v23, 2.0, -v7
	ds_write_b64 v10, v[4:5]
	ds_write_b64 v48, v[6:7]
	v_lshlrev_b32_e32 v4, 3, v11
	s_waitcnt lgkmcnt(0)
	; wave barrier
	s_waitcnt lgkmcnt(0)
	global_load_dwordx2 v[4:5], v4, s[8:9]
	ds_read2_b32 v[6:7], v20 offset0:192 offset1:248
	ds_read2_b32 v[8:9], v18 offset0:48 offset1:104
	s_movk_i32 s0, 0x7c
	v_lshlrev_b32_e32 v45, 1, v24
	s_movk_i32 s1, 0x2fc
	s_mov_b32 s4, 0xbf3bfb3b
	s_mov_b32 s5, 0xbeae86e6
	s_waitcnt vmcnt(0)
	v_mul_f32_e32 v17, v35, v5
	s_waitcnt lgkmcnt(1)
	v_mul_f32_e32 v10, v6, v5
	v_fmac_f32_e32 v17, v6, v4
	s_waitcnt lgkmcnt(0)
	v_mul_f32_e32 v6, v8, v5
	v_mul_f32_e32 v19, v36, v5
	v_fma_f32 v16, v39, v4, -v6
	v_mul_f32_e32 v6, v9, v5
	v_mul_f32_e32 v13, v7, v5
	v_fmac_f32_e32 v19, v7, v4
	v_fma_f32 v21, v40, v4, -v6
	ds_read2_b32 v[6:7], v18 offset0:160 offset1:216
	v_mul_f32_e32 v25, v39, v5
	v_fmac_f32_e32 v25, v8, v4
	v_fma_f32 v15, v35, v4, -v10
	v_mul_f32_e32 v35, v40, v5
	s_waitcnt lgkmcnt(0)
	v_mul_f32_e32 v8, v6, v5
	v_fma_f32 v23, v43, v4, -v8
	v_mul_f32_e32 v8, v7, v5
	v_fmac_f32_e32 v35, v9, v4
	v_fma_f32 v27, v44, v4, -v8
	ds_read2_b32 v[8:9], v20 offset0:80 offset1:136
	v_fma_f32 v13, v36, v4, -v13
	v_mul_f32_e32 v36, v43, v5
	v_fmac_f32_e32 v36, v6, v4
	v_mul_f32_e32 v28, v34, v5
	s_waitcnt lgkmcnt(0)
	v_mul_f32_e32 v6, v9, v5
	v_fma_f32 v6, v34, v4, -v6
	v_lshlrev_b32_e32 v34, 1, v0
	v_sub_f32_e32 v29, v31, v6
	v_and_or_b32 v30, v34, s0, v11
	v_mul_f32_e32 v39, v44, v5
	v_lshl_add_u32 v40, v30, 2, 0
	v_fma_f32 v30, v31, 2.0, -v29
	s_movk_i32 s0, 0xfc
	v_lshlrev_b32_e32 v43, 1, v26
	v_fmac_f32_e32 v39, v7, v4
	v_fmac_f32_e32 v28, v9, v4
	ds_read2_b32 v[4:5], v1 offset1:56
	ds_read2_b32 v[6:7], v1 offset0:112 offset1:168
	ds_read2_b32 v[9:10], v22 offset0:96 offset1:152
	s_waitcnt lgkmcnt(0)
	; wave barrier
	s_waitcnt lgkmcnt(0)
	ds_write2_b32 v40, v30, v29 offset1:2
	v_sub_f32_e32 v15, v32, v15
	v_and_or_b32 v30, v43, s0, v11
	v_fma_f32 v29, v32, 2.0, -v15
	v_lshl_add_u32 v44, v30, 2, 0
	s_movk_i32 s0, 0x1fc
	ds_write2_b32 v44, v29, v15 offset1:2
	v_sub_f32_e32 v13, v37, v13
	v_and_or_b32 v15, v45, s0, v11
	v_lshl_add_u32 v48, v15, 2, 0
	v_fma_f32 v15, v37, 2.0, -v13
	v_lshlrev_b32_e32 v37, 1, v46
	ds_write2_b32 v48, v15, v13 offset1:2
	v_sub_f32_e32 v13, v38, v16
	v_and_or_b32 v16, v37, s0, v11
	v_fma_f32 v15, v38, 2.0, -v13
	v_lshl_add_u32 v38, v16, 2, 0
	v_lshlrev_b32_e32 v46, 1, v14
	s_movk_i32 s0, 0x3fc
	ds_write2_b32 v38, v15, v13 offset1:2
	v_sub_f32_e32 v13, v41, v21
	v_and_or_b32 v14, v46, s0, v11
	v_lshl_add_u32 v21, v14, 2, 0
	v_fma_f32 v14, v41, 2.0, -v13
	v_lshlrev_b32_e32 v41, 1, v47
	ds_write2_b32 v21, v14, v13 offset1:2
	v_sub_f32_e32 v13, v42, v23
	v_and_or_b32 v15, v41, s1, v11
	v_fma_f32 v14, v42, 2.0, -v13
	v_lshl_add_u32 v42, v15, 2, 0
	ds_write2_b32 v42, v14, v13 offset1:2
	v_sub_f32_e32 v13, v33, v27
	v_fma_f32 v14, v33, 2.0, -v13
	v_lshlrev_b32_e32 v33, 1, v12
	v_and_or_b32 v11, v33, s0, v11
	v_sub_f32_e32 v49, v4, v28
	v_lshl_add_u32 v47, v11, 2, 0
	v_fma_f32 v4, v4, 2.0, -v49
	ds_write2_b32 v47, v14, v13 offset1:2
	s_waitcnt lgkmcnt(0)
	; wave barrier
	s_waitcnt lgkmcnt(0)
	ds_read2_b32 v[11:12], v1 offset1:56
	ds_read2_b32 v[13:14], v20 offset0:80 offset1:136
	ds_read2_b32 v[15:16], v20 offset0:192 offset1:248
	;; [unrolled: 1-line block ×6, first 2 shown]
	s_waitcnt lgkmcnt(0)
	; wave barrier
	s_waitcnt lgkmcnt(0)
	ds_write2_b32 v40, v4, v49 offset1:2
	v_sub_f32_e32 v4, v5, v17
	v_fma_f32 v5, v5, 2.0, -v4
	ds_write2_b32 v44, v5, v4 offset1:2
	v_sub_f32_e32 v4, v6, v19
	v_fma_f32 v5, v6, 2.0, -v4
	;; [unrolled: 3-line block ×6, first 2 shown]
	v_and_b32_e32 v17, 3, v0
	ds_write2_b32 v47, v5, v4 offset1:2
	v_lshlrev_b32_e32 v4, 3, v17
	s_waitcnt lgkmcnt(0)
	; wave barrier
	s_waitcnt lgkmcnt(0)
	global_load_dwordx2 v[4:5], v4, s[8:9] offset:16
	ds_read2_b32 v[6:7], v20 offset0:192 offset1:248
	s_movk_i32 s0, 0x78
	s_movk_i32 s1, 0x2f8
	s_waitcnt vmcnt(0) lgkmcnt(0)
	v_mul_f32_e32 v8, v6, v5
	v_fma_f32 v19, v15, v4, -v8
	v_mul_f32_e32 v8, v7, v5
	v_fma_f32 v21, v16, v4, -v8
	ds_read2_b32 v[8:9], v18 offset0:48 offset1:104
	v_mul_f32_e32 v25, v15, v5
	v_fmac_f32_e32 v25, v6, v4
	v_mul_f32_e32 v35, v16, v5
	v_fmac_f32_e32 v35, v7, v4
	s_waitcnt lgkmcnt(0)
	v_mul_f32_e32 v6, v8, v5
	v_fma_f32 v15, v27, v4, -v6
	v_mul_f32_e32 v6, v9, v5
	v_fma_f32 v16, v28, v4, -v6
	ds_read2_b32 v[6:7], v18 offset0:160 offset1:216
	v_mul_f32_e32 v36, v27, v5
	v_fmac_f32_e32 v36, v8, v4
	v_mul_f32_e32 v38, v28, v5
	v_fmac_f32_e32 v38, v9, v4
	s_waitcnt lgkmcnt(0)
	v_mul_f32_e32 v8, v6, v5
	v_fma_f32 v27, v31, v4, -v8
	v_mul_f32_e32 v8, v7, v5
	v_fma_f32 v28, v32, v4, -v8
	ds_read2_b32 v[8:9], v20 offset0:80 offset1:136
	v_mul_f32_e32 v39, v31, v5
	v_fmac_f32_e32 v39, v6, v4
	v_mul_f32_e32 v40, v32, v5
	v_and_or_b32 v32, v34, s0, v17
	s_waitcnt lgkmcnt(0)
	v_mul_f32_e32 v6, v9, v5
	v_fma_f32 v6, v14, v4, -v6
	v_sub_f32_e32 v31, v11, v6
	v_mul_f32_e32 v14, v14, v5
	v_lshl_add_u32 v42, v32, 2, 0
	v_fma_f32 v11, v11, 2.0, -v31
	s_movk_i32 s0, 0xf8
	v_fmac_f32_e32 v40, v7, v4
	v_fmac_f32_e32 v14, v9, v4
	ds_read2_b32 v[4:5], v1 offset1:56
	ds_read2_b32 v[6:7], v1 offset0:112 offset1:168
	ds_read2_b32 v[9:10], v22 offset0:96 offset1:152
	s_waitcnt lgkmcnt(0)
	; wave barrier
	s_waitcnt lgkmcnt(0)
	ds_write2_b32 v42, v11, v31 offset1:4
	v_sub_f32_e32 v11, v12, v19
	v_and_or_b32 v19, v43, s0, v17
	v_fma_f32 v12, v12, 2.0, -v11
	v_lshl_add_u32 v19, v19, 2, 0
	s_movk_i32 s0, 0x1f8
	ds_write2_b32 v19, v12, v11 offset1:4
	v_sub_f32_e32 v11, v23, v21
	v_and_or_b32 v12, v45, s0, v17
	v_lshl_add_u32 v21, v12, 2, 0
	v_fma_f32 v12, v23, 2.0, -v11
	ds_write2_b32 v21, v12, v11 offset1:4
	v_sub_f32_e32 v11, v24, v15
	v_and_or_b32 v15, v37, s0, v17
	v_fma_f32 v12, v24, 2.0, -v11
	v_lshl_add_u32 v44, v15, 2, 0
	s_movk_i32 s0, 0x3f8
	ds_write2_b32 v44, v12, v11 offset1:4
	v_sub_f32_e32 v11, v29, v16
	v_and_or_b32 v12, v46, s0, v17
	v_lshl_add_u32 v47, v12, 2, 0
	v_fma_f32 v12, v29, 2.0, -v11
	ds_write2_b32 v47, v12, v11 offset1:4
	v_sub_f32_e32 v11, v30, v27
	v_and_or_b32 v15, v41, s1, v17
	v_fma_f32 v12, v30, 2.0, -v11
	v_lshl_add_u32 v48, v15, 2, 0
	ds_write2_b32 v48, v12, v11 offset1:4
	v_sub_f32_e32 v11, v13, v28
	v_fma_f32 v12, v13, 2.0, -v11
	v_and_or_b32 v13, v33, s0, v17
	v_sub_f32_e32 v49, v4, v14
	v_lshl_add_u32 v17, v13, 2, 0
	v_fma_f32 v4, v4, 2.0, -v49
	ds_write2_b32 v17, v12, v11 offset1:4
	s_waitcnt lgkmcnt(0)
	; wave barrier
	s_waitcnt lgkmcnt(0)
	ds_read2_b32 v[11:12], v1 offset1:56
	ds_read2_b32 v[13:14], v20 offset0:80 offset1:136
	ds_read2_b32 v[15:16], v20 offset0:192 offset1:248
	ds_read2_b32 v[23:24], v1 offset0:112 offset1:168
	ds_read2_b32 v[27:28], v18 offset0:48 offset1:104
	ds_read2_b32 v[29:30], v22 offset0:96 offset1:152
	ds_read2_b32 v[31:32], v18 offset0:160 offset1:216
	s_waitcnt lgkmcnt(0)
	; wave barrier
	s_waitcnt lgkmcnt(0)
	ds_write2_b32 v42, v4, v49 offset1:4
	v_sub_f32_e32 v4, v5, v25
	v_fma_f32 v5, v5, 2.0, -v4
	ds_write2_b32 v19, v5, v4 offset1:4
	v_sub_f32_e32 v4, v6, v35
	v_fma_f32 v5, v6, 2.0, -v4
	;; [unrolled: 3-line block ×6, first 2 shown]
	ds_write2_b32 v17, v5, v4 offset1:4
	v_and_b32_e32 v17, 7, v0
	v_lshlrev_b32_e32 v4, 3, v17
	s_waitcnt lgkmcnt(0)
	; wave barrier
	s_waitcnt lgkmcnt(0)
	global_load_dwordx2 v[4:5], v4, s[8:9] offset:48
	ds_read2_b32 v[6:7], v20 offset0:192 offset1:248
	s_movk_i32 s0, 0x70
	v_and_or_b32 v34, v34, s0, v17
	v_lshl_add_u32 v34, v34, 2, 0
	s_movk_i32 s0, 0xf0
	s_movk_i32 s1, 0x2f0
	s_waitcnt vmcnt(0) lgkmcnt(0)
	v_mul_f32_e32 v8, v6, v5
	v_fma_f32 v19, v15, v4, -v8
	v_mul_f32_e32 v8, v7, v5
	v_fma_f32 v21, v16, v4, -v8
	ds_read2_b32 v[8:9], v18 offset0:48 offset1:104
	v_mul_f32_e32 v15, v15, v5
	v_fmac_f32_e32 v15, v6, v4
	v_mul_f32_e32 v25, v16, v5
	v_fmac_f32_e32 v25, v7, v4
	s_waitcnt lgkmcnt(0)
	v_mul_f32_e32 v6, v8, v5
	v_fma_f32 v16, v27, v4, -v6
	v_mul_f32_e32 v6, v9, v5
	v_fma_f32 v35, v28, v4, -v6
	ds_read2_b32 v[6:7], v18 offset0:160 offset1:216
	v_mul_f32_e32 v27, v27, v5
	v_fmac_f32_e32 v27, v8, v4
	v_mul_f32_e32 v28, v28, v5
	v_fmac_f32_e32 v28, v9, v4
	s_waitcnt lgkmcnt(0)
	;; [unrolled: 10-line block ×3, first 2 shown]
	v_mul_f32_e32 v6, v9, v5
	v_fma_f32 v6, v14, v4, -v6
	v_sub_f32_e32 v39, v11, v6
	v_mul_f32_e32 v14, v14, v5
	v_fma_f32 v11, v11, 2.0, -v39
	v_fmac_f32_e32 v14, v9, v4
	ds_read2_b32 v[4:5], v1 offset1:56
	ds_read2_b32 v[6:7], v1 offset0:112 offset1:168
	ds_read2_b32 v[9:10], v22 offset0:96 offset1:152
	s_waitcnt lgkmcnt(0)
	; wave barrier
	s_waitcnt lgkmcnt(0)
	ds_write2_b32 v34, v11, v39 offset1:8
	v_sub_f32_e32 v11, v12, v19
	v_and_or_b32 v19, v43, s0, v17
	v_fma_f32 v12, v12, 2.0, -v11
	v_lshl_add_u32 v19, v19, 2, 0
	s_movk_i32 s0, 0x1f0
	ds_write2_b32 v19, v12, v11 offset1:8
	v_sub_f32_e32 v11, v23, v21
	v_and_or_b32 v12, v45, s0, v17
	v_lshl_add_u32 v12, v12, 2, 0
	v_fma_f32 v21, v23, 2.0, -v11
	ds_write2_b32 v12, v21, v11 offset1:8
	v_sub_f32_e32 v11, v24, v16
	v_and_or_b32 v21, v37, s0, v17
	v_fma_f32 v16, v24, 2.0, -v11
	v_lshl_add_u32 v21, v21, 2, 0
	s_movk_i32 s0, 0x3f0
	ds_write2_b32 v21, v16, v11 offset1:8
	v_sub_f32_e32 v11, v29, v35
	v_and_or_b32 v16, v46, s0, v17
	v_lshl_add_u32 v35, v16, 2, 0
	v_fma_f32 v16, v29, 2.0, -v11
	ds_write2_b32 v35, v16, v11 offset1:8
	v_sub_f32_e32 v11, v30, v36
	v_and_or_b32 v23, v41, s1, v17
	v_fma_f32 v16, v30, 2.0, -v11
	v_lshl_add_u32 v29, v23, 2, 0
	ds_write2_b32 v29, v16, v11 offset1:8
	v_sub_f32_e32 v11, v13, v38
	v_sub_f32_e32 v14, v4, v14
	v_and_or_b32 v16, v33, s0, v17
	v_fma_f32 v13, v13, 2.0, -v11
	v_lshl_add_u32 v30, v16, 2, 0
	v_fma_f32 v4, v4, 2.0, -v14
	ds_write2_b32 v30, v13, v11 offset1:8
	s_waitcnt lgkmcnt(0)
	; wave barrier
	s_waitcnt lgkmcnt(0)
	ds_read2_b32 v[16:17], v1 offset1:56
	ds_read2_b32 v[23:24], v1 offset0:112 offset1:168
	ds_read2_b32 v[39:40], v22 offset0:96 offset1:152
	;; [unrolled: 1-line block ×6, first 2 shown]
	s_waitcnt lgkmcnt(0)
	; wave barrier
	s_waitcnt lgkmcnt(0)
	ds_write2_b32 v34, v4, v14 offset1:8
	v_sub_f32_e32 v4, v5, v15
	v_fma_f32 v5, v5, 2.0, -v4
	ds_write2_b32 v19, v5, v4 offset1:8
	v_sub_f32_e32 v4, v6, v25
	v_fma_f32 v5, v6, 2.0, -v4
	;; [unrolled: 3-line block ×4, first 2 shown]
	v_sub_f32_e32 v6, v10, v31
	v_sub_f32_e32 v9, v8, v32
	v_and_b32_e32 v19, 15, v0
	v_fma_f32 v7, v10, 2.0, -v6
	v_fma_f32 v8, v8, 2.0, -v9
	ds_write2_b32 v35, v5, v4 offset1:8
	ds_write2_b32 v29, v7, v6 offset1:8
	;; [unrolled: 1-line block ×3, first 2 shown]
	v_mul_u32_u24_e32 v4, 6, v19
	v_lshlrev_b32_e32 v21, 3, v4
	s_waitcnt lgkmcnt(0)
	; wave barrier
	s_waitcnt lgkmcnt(0)
	global_load_dwordx4 v[4:7], v21, s[8:9] offset:112
	v_and_b32_e32 v25, 15, v26
	v_mul_u32_u24_e32 v8, 6, v25
	v_lshlrev_b32_e32 v49, 3, v8
	global_load_dwordx4 v[8:11], v49, s[8:9] offset:112
	global_load_dwordx4 v[12:15], v21, s[8:9] offset:128
	;; [unrolled: 1-line block ×5, first 2 shown]
	ds_read2_b32 v[49:50], v1 offset0:112 offset1:168
	ds_read2_b32 v[51:52], v22 offset0:96 offset1:152
	s_mov_b32 s0, 0x3f5ff5aa
	s_mov_b32 s1, 0x3f3bfb3b
	s_waitcnt vmcnt(5) lgkmcnt(1)
	v_mul_f32_e32 v21, v49, v5
	v_mul_f32_e32 v53, v23, v5
	v_fma_f32 v21, v23, v4, -v21
	v_fmac_f32_e32 v53, v49, v4
	s_waitcnt lgkmcnt(0)
	v_mul_f32_e32 v4, v51, v7
	v_fma_f32 v49, v39, v6, -v4
	v_mul_f32_e32 v39, v39, v7
	v_fmac_f32_e32 v39, v51, v6
	s_waitcnt vmcnt(4)
	v_mul_f32_e32 v4, v50, v9
	v_mul_f32_e32 v54, v24, v9
	;; [unrolled: 1-line block ×3, first 2 shown]
	v_fma_f32 v51, v24, v8, -v4
	v_fmac_f32_e32 v54, v50, v8
	ds_read2_b32 v[4:5], v20 offset0:80 offset1:136
	v_fma_f32 v50, v40, v10, -v6
	ds_read2_b32 v[6:7], v20 offset0:192 offset1:248
	s_waitcnt vmcnt(3)
	v_mul_f32_e32 v9, v41, v13
	v_mul_f32_e32 v40, v40, v11
	s_waitcnt lgkmcnt(1)
	v_mul_f32_e32 v8, v4, v13
	v_fmac_f32_e32 v9, v4, v12
	s_waitcnt lgkmcnt(0)
	v_mul_f32_e32 v4, v6, v15
	v_fmac_f32_e32 v40, v52, v10
	v_fma_f32 v10, v43, v14, -v4
	v_mul_f32_e32 v11, v43, v15
	s_waitcnt vmcnt(2)
	v_mul_f32_e32 v4, v5, v28
	v_mul_f32_e32 v28, v42, v28
	v_fma_f32 v8, v41, v12, -v8
	v_fmac_f32_e32 v11, v6, v14
	v_fma_f32 v41, v42, v27, -v4
	v_fmac_f32_e32 v28, v5, v27
	v_mul_f32_e32 v6, v7, v30
	ds_read2_b32 v[4:5], v18 offset0:48 offset1:104
	v_mul_f32_e32 v30, v44, v30
	v_fma_f32 v27, v44, v29, -v6
	v_fmac_f32_e32 v30, v7, v29
	ds_read2_b32 v[6:7], v18 offset0:160 offset1:216
	s_waitcnt vmcnt(1) lgkmcnt(1)
	v_mul_f32_e32 v12, v4, v32
	v_mul_f32_e32 v13, v45, v32
	v_fma_f32 v12, v45, v31, -v12
	v_fmac_f32_e32 v13, v4, v31
	s_waitcnt lgkmcnt(0)
	v_mul_f32_e32 v4, v6, v34
	v_mul_f32_e32 v14, v47, v34
	s_waitcnt vmcnt(0)
	v_mul_f32_e32 v31, v46, v36
	v_fma_f32 v4, v47, v33, -v4
	v_fmac_f32_e32 v14, v6, v33
	v_mul_f32_e32 v6, v5, v36
	v_fmac_f32_e32 v31, v5, v35
	v_mul_f32_e32 v5, v7, v38
	v_fma_f32 v29, v46, v35, -v6
	v_fma_f32 v32, v48, v37, -v5
	v_mul_f32_e32 v33, v48, v38
	v_add_f32_e32 v5, v21, v4
	v_add_f32_e32 v6, v49, v12
	v_fmac_f32_e32 v33, v7, v37
	v_add_f32_e32 v7, v8, v10
	v_add_f32_e32 v15, v6, v5
	v_sub_f32_e32 v34, v6, v5
	v_sub_f32_e32 v5, v5, v7
	;; [unrolled: 1-line block ×3, first 2 shown]
	v_add_f32_e32 v7, v7, v15
	v_sub_f32_e32 v23, v39, v13
	v_sub_f32_e32 v24, v11, v9
	;; [unrolled: 1-line block ×3, first 2 shown]
	v_add_f32_e32 v35, v24, v23
	v_add_f32_e32 v16, v16, v7
	v_sub_f32_e32 v37, v15, v24
	v_sub_f32_e32 v38, v23, v15
	v_add_f32_e32 v15, v35, v15
	v_mov_b32_e32 v35, v16
	v_fmac_f32_e32 v35, 0xbf955555, v7
	v_lshrrev_b32_e32 v7, 4, v0
	v_sub_f32_e32 v36, v24, v23
	v_mul_u32_u24_e32 v7, 0x70, v7
	v_or_b32_e32 v7, v7, v19
	v_mul_f32_e32 v5, 0x3f4a47b2, v5
	v_mul_f32_e32 v19, 0xbf08b237, v36
	v_fma_f32 v36, v34, s4, -v5
	v_fmac_f32_e32 v5, 0x3d64c772, v6
	v_fma_f32 v42, v38, s0, -v19
	v_fmac_f32_e32 v19, 0x3eae86e6, v37
	v_add_f32_e32 v5, v5, v35
	v_fmac_f32_e32 v19, 0x3ee1c552, v15
	v_lshl_add_u32 v43, v7, 2, 0
	v_add_f32_e32 v7, v19, v5
	ds_read2_b32 v[23:24], v1 offset1:56
	s_waitcnt lgkmcnt(0)
	; wave barrier
	s_waitcnt lgkmcnt(0)
	ds_write2_b32 v43, v16, v7 offset1:16
	v_mul_f32_e32 v6, 0x3d64c772, v6
	v_mul_f32_e32 v7, 0x3f5ff5aa, v38
	v_fma_f32 v6, v34, s1, -v6
	v_fma_f32 v7, v37, s5, -v7
	v_add_f32_e32 v6, v6, v35
	v_add_f32_e32 v16, v36, v35
	v_fmac_f32_e32 v42, 0x3ee1c552, v15
	v_fmac_f32_e32 v7, 0x3ee1c552, v15
	v_add_f32_e32 v15, v7, v16
	v_sub_f32_e32 v34, v6, v42
	v_add_f32_e32 v6, v42, v6
	v_sub_f32_e32 v7, v16, v7
	ds_write2_b32 v43, v6, v7 offset0:64 offset1:80
	v_add_f32_e32 v6, v51, v32
	v_add_f32_e32 v7, v50, v29
	ds_write2_b32 v43, v15, v34 offset0:32 offset1:48
	v_add_f32_e32 v15, v41, v27
	v_add_f32_e32 v16, v7, v6
	v_sub_f32_e32 v5, v5, v19
	v_sub_f32_e32 v34, v7, v6
	;; [unrolled: 1-line block ×4, first 2 shown]
	v_add_f32_e32 v15, v15, v16
	v_sub_f32_e32 v19, v40, v31
	v_sub_f32_e32 v35, v30, v28
	;; [unrolled: 1-line block ×3, first 2 shown]
	v_add_f32_e32 v36, v35, v19
	v_add_f32_e32 v17, v17, v15
	v_sub_f32_e32 v37, v35, v19
	v_sub_f32_e32 v35, v16, v35
	;; [unrolled: 1-line block ×3, first 2 shown]
	v_add_f32_e32 v16, v36, v16
	v_mov_b32_e32 v36, v17
	v_lshrrev_b32_e32 v19, 4, v26
	v_fmac_f32_e32 v36, 0xbf955555, v15
	ds_write_b32 v43, v5 offset:384
	v_mul_u32_u24_e32 v5, 0x70, v19
	v_mul_f32_e32 v6, 0x3f4a47b2, v6
	v_mul_f32_e32 v15, 0xbf08b237, v37
	v_or_b32_e32 v5, v5, v25
	v_fma_f32 v25, v34, s4, -v6
	v_fmac_f32_e32 v6, 0x3d64c772, v7
	v_fma_f32 v37, v38, s0, -v15
	v_fmac_f32_e32 v15, 0x3eae86e6, v35
	v_add_f32_e32 v6, v6, v36
	v_fmac_f32_e32 v15, 0x3ee1c552, v16
	v_lshl_add_u32 v42, v5, 2, 0
	v_add_f32_e32 v5, v15, v6
	ds_write2_b32 v42, v17, v5 offset1:16
	v_mul_f32_e32 v5, 0x3d64c772, v7
	v_mul_f32_e32 v7, 0x3f5ff5aa, v38
	v_fma_f32 v5, v34, s1, -v5
	v_fma_f32 v7, v35, s5, -v7
	v_add_f32_e32 v5, v5, v36
	v_add_f32_e32 v17, v25, v36
	v_fmac_f32_e32 v37, 0x3ee1c552, v16
	v_fmac_f32_e32 v7, 0x3ee1c552, v16
	v_add_f32_e32 v16, v7, v17
	v_sub_f32_e32 v25, v5, v37
	v_add_f32_e32 v5, v37, v5
	v_sub_f32_e32 v7, v17, v7
	ds_write2_b32 v42, v5, v7 offset0:64 offset1:80
	v_add_f32_e32 v5, v53, v14
	v_add_f32_e32 v7, v39, v13
	v_sub_f32_e32 v12, v49, v12
	v_add_f32_e32 v9, v9, v11
	v_sub_f32_e32 v8, v10, v8
	v_add_f32_e32 v10, v7, v5
	ds_write2_b32 v42, v16, v25 offset0:32 offset1:48
	v_sub_f32_e32 v4, v21, v4
	v_sub_f32_e32 v21, v7, v5
	;; [unrolled: 1-line block ×4, first 2 shown]
	v_add_f32_e32 v7, v9, v10
	v_add_f32_e32 v9, v8, v12
	v_sub_f32_e32 v10, v8, v12
	v_sub_f32_e32 v34, v4, v8
	;; [unrolled: 1-line block ×3, first 2 shown]
	v_add_f32_e32 v36, v9, v4
	v_add_f32_e32 v23, v23, v7
	v_sub_f32_e32 v4, v6, v15
	v_mov_b32_e32 v37, v23
	ds_write_b32 v42, v4 offset:384
	v_mul_f32_e32 v4, 0x3f4a47b2, v5
	v_mul_f32_e32 v38, 0xbf08b237, v10
	v_fmac_f32_e32 v37, 0xbf955555, v7
	v_fma_f32 v39, v21, s4, -v4
	v_fmac_f32_e32 v4, 0x3d64c772, v25
	v_fma_f32 v44, v35, s0, -v38
	v_fmac_f32_e32 v38, 0x3eae86e6, v34
	v_add_f32_e32 v45, v4, v37
	v_fmac_f32_e32 v38, 0x3ee1c552, v36
	v_sub_f32_e32 v46, v45, v38
	s_waitcnt lgkmcnt(0)
	; wave barrier
	s_waitcnt lgkmcnt(0)
	ds_read2_b32 v[4:5], v1 offset1:56
	ds_read2_b32 v[10:11], v1 offset0:112 offset1:168
	ds_read2_b32 v[6:7], v22 offset0:96 offset1:152
	;; [unrolled: 1-line block ×6, first 2 shown]
	s_waitcnt lgkmcnt(0)
	; wave barrier
	s_waitcnt lgkmcnt(0)
	ds_write2_b32 v43, v23, v46 offset1:16
	v_mul_f32_e32 v23, 0x3d64c772, v25
	v_fma_f32 v21, v21, s1, -v23
	v_mul_f32_e32 v23, 0x3f5ff5aa, v35
	v_fma_f32 v23, v34, s5, -v23
	v_add_f32_e32 v21, v21, v37
	v_add_f32_e32 v25, v39, v37
	v_fmac_f32_e32 v44, 0x3ee1c552, v36
	v_fmac_f32_e32 v23, 0x3ee1c552, v36
	v_sub_f32_e32 v34, v25, v23
	v_add_f32_e32 v35, v44, v21
	v_sub_f32_e32 v21, v21, v44
	v_add_f32_e32 v23, v23, v25
	ds_write2_b32 v43, v21, v23 offset0:64 offset1:80
	v_add_f32_e32 v23, v54, v33
	v_add_f32_e32 v31, v40, v31
	;; [unrolled: 1-line block ×4, first 2 shown]
	v_sub_f32_e32 v25, v51, v32
	v_sub_f32_e32 v29, v50, v29
	;; [unrolled: 1-line block ×6, first 2 shown]
	v_add_f32_e32 v28, v28, v30
	v_add_f32_e32 v30, v27, v29
	;; [unrolled: 1-line block ×3, first 2 shown]
	v_sub_f32_e32 v33, v27, v29
	v_sub_f32_e32 v27, v25, v27
	;; [unrolled: 1-line block ×3, first 2 shown]
	v_add_f32_e32 v25, v30, v25
	v_mov_b32_e32 v30, v24
	v_fmac_f32_e32 v30, 0xbf955555, v28
	v_mul_f32_e32 v23, 0x3f4a47b2, v23
	v_mul_f32_e32 v28, 0x3d64c772, v31
	v_fma_f32 v28, v32, s1, -v28
	v_fma_f32 v32, v32, s4, -v23
	v_fmac_f32_e32 v23, 0x3d64c772, v31
	v_mul_f32_e32 v31, 0xbf08b237, v33
	v_mul_f32_e32 v33, 0x3f5ff5aa, v29
	v_fma_f32 v29, v29, s0, -v31
	v_fmac_f32_e32 v31, 0x3eae86e6, v27
	v_fma_f32 v27, v27, s5, -v33
	v_add_f32_e32 v21, v38, v45
	v_add_f32_e32 v23, v23, v30
	;; [unrolled: 1-line block ×4, first 2 shown]
	v_fmac_f32_e32 v31, 0x3ee1c552, v25
	v_fmac_f32_e32 v29, 0x3ee1c552, v25
	;; [unrolled: 1-line block ×3, first 2 shown]
	ds_write2_b32 v43, v34, v35 offset0:32 offset1:48
	v_add_f32_e32 v25, v29, v28
	v_sub_f32_e32 v28, v28, v29
	v_sub_f32_e32 v29, v30, v27
	v_add_f32_e32 v27, v27, v30
	v_sub_f32_e32 v30, v23, v31
	v_add_f32_e32 v23, v31, v23
	ds_write_b32 v43, v21 offset:384
	ds_write2_b32 v42, v24, v30 offset1:16
	ds_write2_b32 v42, v29, v25 offset0:32 offset1:48
	ds_write2_b32 v42, v28, v27 offset0:64 offset1:80
	ds_write_b32 v42, v23 offset:384
	s_waitcnt lgkmcnt(0)
	; wave barrier
	s_waitcnt lgkmcnt(0)
	s_and_saveexec_b64 s[6:7], vcc
	s_cbranch_execz .LBB0_13
; %bb.12:
	v_mul_u32_u24_e32 v21, 6, v26
	v_lshlrev_b32_e32 v21, 3, v21
	global_load_dwordx4 v[23:26], v21, s[8:9] offset:880
	global_load_dwordx4 v[27:30], v21, s[8:9] offset:912
	;; [unrolled: 1-line block ×3, first 2 shown]
	ds_read2_b32 v[39:40], v1 offset0:112 offset1:168
	ds_read2_b32 v[41:42], v18 offset0:160 offset1:216
	;; [unrolled: 1-line block ×6, first 2 shown]
	ds_read2_b32 v[51:52], v1 offset1:56
	v_mul_u32_u24_e32 v1, 6, v0
	v_lshlrev_b32_e32 v1, 3, v1
	global_load_dwordx4 v[35:38], v1, s[8:9] offset:880
	s_waitcnt vmcnt(3) lgkmcnt(6)
	v_mul_f32_e32 v18, v40, v24
	s_waitcnt vmcnt(2) lgkmcnt(5)
	v_mul_f32_e32 v20, v30, v42
	;; [unrolled: 2-line block ×3, first 2 shown]
	s_waitcnt lgkmcnt(3)
	v_mul_f32_e32 v22, v32, v46
	v_mul_f32_e32 v46, v31, v46
	;; [unrolled: 1-line block ×3, first 2 shown]
	s_waitcnt lgkmcnt(2)
	v_mul_f32_e32 v53, v26, v48
	s_waitcnt lgkmcnt(1)
	v_mul_f32_e32 v54, v28, v50
	v_mul_f32_e32 v42, v29, v42
	v_mul_f32_e32 v24, v11, v24
	v_fma_f32 v21, v15, v33, -v21
	v_fma_f32 v22, v17, v31, -v22
	v_fmac_f32_e32 v46, v17, v32
	v_fmac_f32_e32 v44, v15, v34
	v_mul_f32_e32 v15, v27, v50
	v_mul_f32_e32 v17, v25, v48
	v_fma_f32 v11, v11, v23, -v18
	v_fma_f32 v18, v13, v29, -v20
	;; [unrolled: 1-line block ×4, first 2 shown]
	v_fmac_f32_e32 v42, v13, v30
	v_fmac_f32_e32 v24, v23, v40
	;; [unrolled: 1-line block ×4, first 2 shown]
	v_sub_f32_e32 v7, v11, v18
	v_sub_f32_e32 v9, v21, v22
	;; [unrolled: 1-line block ×3, first 2 shown]
	v_add_f32_e32 v23, v24, v42
	v_add_f32_e32 v27, v17, v15
	;; [unrolled: 1-line block ×6, first 2 shown]
	v_sub_f32_e32 v21, v24, v42
	v_sub_f32_e32 v22, v44, v46
	;; [unrolled: 1-line block ×5, first 2 shown]
	v_add_f32_e32 v9, v9, v13
	v_add_f32_e32 v29, v23, v27
	;; [unrolled: 1-line block ×3, first 2 shown]
	v_sub_f32_e32 v13, v13, v7
	v_sub_f32_e32 v25, v23, v26
	;; [unrolled: 1-line block ×8, first 2 shown]
	v_mul_f32_e32 v20, 0xbf08b237, v24
	v_add_f32_e32 v26, v26, v29
	v_add_f32_e32 v27, v18, v32
	v_mul_f32_e32 v18, 0x3f5ff5aa, v13
	v_sub_f32_e32 v33, v21, v22
	v_add_f32_e32 v22, v22, v15
	v_mul_f32_e32 v24, 0x3d64c772, v28
	v_mul_f32_e32 v32, 0xbf08b237, v34
	v_mov_b32_e32 v34, v20
	v_fma_f32 v40, v17, s5, -v18
	s_waitcnt lgkmcnt(0)
	v_add_f32_e32 v18, v52, v26
	v_sub_f32_e32 v15, v15, v21
	v_add_f32_e32 v7, v7, v9
	v_mul_f32_e32 v9, 0x3f4a47b2, v25
	v_add_f32_e32 v22, v21, v22
	v_mov_b32_e32 v28, v24
	v_fmac_f32_e32 v34, 0x3eae86e6, v17
	v_add_f32_e32 v17, v5, v27
	v_mov_b32_e32 v5, v18
	v_mul_f32_e32 v21, 0x3f5ff5aa, v15
	v_fmac_f32_e32 v28, 0x3f4a47b2, v25
	v_fmac_f32_e32 v5, 0xbf955555, v26
	v_mov_b32_e32 v25, v17
	v_fma_f32 v9, v23, s4, -v9
	v_fma_f32 v42, v33, s5, -v21
	;; [unrolled: 1-line block ×3, first 2 shown]
	v_mul_f32_e32 v23, 0x3d64c772, v31
	v_fmac_f32_e32 v25, 0xbf955555, v27
	v_mov_b32_e32 v26, v32
	v_add_f32_e32 v27, v28, v5
	v_add_f32_e32 v9, v9, v5
	;; [unrolled: 1-line block ×3, first 2 shown]
	v_mov_b32_e32 v21, v23
	v_fmac_f32_e32 v26, 0x3eae86e6, v33
	v_fmac_f32_e32 v21, 0x3f4a47b2, v30
	v_mul_f32_e32 v24, 0x3f4a47b2, v30
	v_fma_f32 v13, v13, s0, -v20
	v_fmac_f32_e32 v34, 0x3ee1c552, v7
	v_add_f32_e32 v44, v21, v25
	v_fmac_f32_e32 v26, 0x3ee1c552, v22
	v_fmac_f32_e32 v40, 0x3ee1c552, v7
	;; [unrolled: 1-line block ×3, first 2 shown]
	v_fma_f32 v7, v11, s4, -v24
	v_fma_f32 v11, v11, s1, -v23
	v_add_f32_e32 v29, v34, v27
	v_sub_f32_e32 v28, v44, v26
	v_add_f32_e32 v7, v7, v25
	v_fma_f32 v15, v15, s0, -v32
	v_add_f32_e32 v11, v11, v25
	v_sub_f32_e32 v57, v27, v34
	v_add_f32_e32 v56, v26, v44
	global_load_dwordx4 v[24:27], v1, s[8:9] offset:912
	v_fmac_f32_e32 v42, 0x3ee1c552, v22
	v_fmac_f32_e32 v15, 0x3ee1c552, v22
	global_load_dwordx4 v[20:23], v1, s[8:9] offset:896
	v_sub_f32_e32 v33, v5, v13
	v_add_f32_e32 v53, v13, v5
	s_waitcnt vmcnt(2)
	v_mul_f32_e32 v5, v39, v36
	v_add_f32_e32 v32, v15, v11
	v_sub_f32_e32 v52, v11, v15
	v_fma_f32 v11, v10, v35, -v5
	v_sub_f32_e32 v30, v7, v42
	v_add_f32_e32 v54, v42, v7
	v_mul_f32_e32 v7, v47, v38
	v_add_f32_e32 v31, v40, v9
	v_sub_f32_e32 v55, v9, v40
	v_mul_f32_e32 v10, v10, v36
	v_fmac_f32_e32 v10, v35, v39
	s_waitcnt vmcnt(1)
	v_mul_f32_e32 v5, v41, v27
	v_fma_f32 v13, v12, v26, -v5
	v_mul_f32_e32 v12, v12, v27
	s_waitcnt vmcnt(0)
	v_mul_f32_e32 v5, v43, v23
	v_mul_f32_e32 v1, v45, v21
	;; [unrolled: 1-line block ×3, first 2 shown]
	v_fma_f32 v15, v14, v22, -v5
	v_mul_f32_e32 v14, v14, v23
	v_fma_f32 v21, v6, v37, -v7
	v_mul_f32_e32 v7, v49, v25
	v_fma_f32 v1, v16, v20, -v1
	v_fmac_f32_e32 v14, v22, v43
	v_fma_f32 v22, v8, v24, -v7
	v_sub_f32_e32 v16, v11, v13
	v_sub_f32_e32 v5, v15, v1
	;; [unrolled: 1-line block ×3, first 2 shown]
	v_mul_f32_e32 v8, v8, v25
	v_mul_f32_e32 v6, v6, v38
	v_add_f32_e32 v1, v15, v1
	v_add_f32_e32 v21, v21, v22
	v_fmac_f32_e32 v9, v20, v45
	v_sub_f32_e32 v20, v16, v5
	v_sub_f32_e32 v7, v5, v23
	v_add_f32_e32 v5, v5, v23
	v_fmac_f32_e32 v8, v24, v49
	v_fmac_f32_e32 v6, v37, v47
	v_sub_f32_e32 v22, v1, v21
	v_add_f32_e32 v40, v16, v5
	v_add_f32_e32 v5, v14, v9
	;; [unrolled: 1-line block ×4, first 2 shown]
	v_mul_f32_e32 v22, 0x3d64c772, v22
	v_fmac_f32_e32 v12, v26, v41
	v_sub_f32_e32 v25, v5, v24
	v_sub_f32_e32 v13, v11, v1
	v_mov_b32_e32 v38, v22
	v_add_f32_e32 v26, v10, v12
	v_mul_f32_e32 v25, 0x3d64c772, v25
	v_mul_f32_e32 v15, 0x3f4a47b2, v13
	v_fmac_f32_e32 v38, 0x3f4a47b2, v13
	v_add_f32_e32 v13, v11, v21
	v_mul_f32_e32 v34, 0xbf08b237, v7
	v_sub_f32_e32 v7, v26, v5
	v_mov_b32_e32 v36, v25
	v_add_f32_e32 v1, v1, v13
	v_mul_f32_e32 v35, 0x3f4a47b2, v7
	v_fmac_f32_e32 v36, 0x3f4a47b2, v7
	v_add_f32_e32 v7, v26, v24
	v_add_f32_e32 v4, v4, v1
	v_sub_f32_e32 v9, v14, v9
	v_sub_f32_e32 v8, v6, v8
	v_add_f32_e32 v7, v5, v7
	v_mov_b32_e32 v13, v4
	v_sub_f32_e32 v6, v9, v8
	v_add_f32_e32 v5, v51, v7
	v_fmac_f32_e32 v13, 0xbf955555, v1
	v_sub_f32_e32 v10, v10, v12
	v_mul_f32_e32 v14, 0xbf08b237, v6
	v_add_f32_e32 v6, v9, v8
	v_sub_f32_e32 v16, v23, v16
	v_sub_f32_e32 v21, v21, v11
	v_mov_b32_e32 v27, v34
	v_mov_b32_e32 v37, v5
	v_add_f32_e32 v1, v38, v13
	v_sub_f32_e32 v12, v10, v9
	v_mov_b32_e32 v38, v14
	v_add_f32_e32 v39, v10, v6
	v_mul_f32_e32 v9, 0x3f5ff5aa, v16
	v_sub_f32_e32 v23, v24, v26
	v_fma_f32 v11, v21, s4, -v15
	v_sub_f32_e32 v10, v8, v10
	v_fmac_f32_e32 v27, 0x3eae86e6, v20
	v_fmac_f32_e32 v37, 0xbf955555, v7
	v_fmac_f32_e32 v38, 0x3eae86e6, v12
	v_fma_f32 v20, v20, s5, -v9
	v_fma_f32 v9, v23, s4, -v35
	v_add_f32_e32 v26, v11, v13
	v_mul_f32_e32 v8, 0x3f5ff5aa, v10
	v_fma_f32 v11, v23, s1, -v25
	v_fma_f32 v15, v16, s0, -v34
	;; [unrolled: 1-line block ×4, first 2 shown]
	v_fmac_f32_e32 v38, 0x3ee1c552, v39
	v_fmac_f32_e32 v20, 0x3ee1c552, v40
	v_add_f32_e32 v24, v9, v37
	v_fma_f32 v35, v12, s5, -v8
	v_add_f32_e32 v12, v11, v37
	v_fmac_f32_e32 v15, 0x3ee1c552, v40
	v_fmac_f32_e32 v14, 0x3ee1c552, v39
	v_add_f32_e32 v16, v10, v13
	v_sub_f32_e32 v6, v1, v38
	v_add_f32_e32 v9, v20, v24
	v_sub_f32_e32 v11, v12, v15
	v_add_f32_e32 v10, v14, v16
	v_add_f32_e32 v13, v15, v12
	v_sub_f32_e32 v12, v16, v14
	v_sub_f32_e32 v15, v24, v20
	v_add_f32_e32 v20, v38, v1
	v_mov_b32_e32 v1, 0
	v_mov_b32_e32 v16, s3
	v_add_co_u32_e32 v22, vcc, s2, v2
	s_mov_b32 s1, 0x24924925
	v_addc_co_u32_e32 v16, vcc, v16, v3, vcc
	v_lshlrev_b64 v[2:3], 3, v[0:1]
	v_mul_hi_u32 v0, v19, s1
	v_add_co_u32_e32 v2, vcc, v22, v2
	v_fmac_f32_e32 v27, 0x3ee1c552, v40
	v_add_f32_e32 v36, v36, v37
	v_fmac_f32_e32 v35, 0x3ee1c552, v39
	v_addc_co_u32_e32 v3, vcc, v16, v3, vcc
	s_movk_i32 s0, 0x1000
	v_mul_u32_u24_e32 v0, 0x2a0, v0
	v_add_f32_e32 v14, v35, v26
	v_sub_f32_e32 v21, v36, v27
	global_store_dwordx2 v[2:3], v[4:5], off
	global_store_dwordx2 v[2:3], v[20:21], off offset:896
	global_store_dwordx2 v[2:3], v[14:15], off offset:1792
	;; [unrolled: 1-line block ×4, first 2 shown]
	v_add_co_u32_e32 v4, vcc, s0, v2
	v_lshlrev_b64 v[0:1], 3, v[0:1]
	v_addc_co_u32_e32 v5, vcc, 0, v3, vcc
	v_add_co_u32_e32 v0, vcc, v2, v0
	v_sub_f32_e32 v8, v26, v35
	v_addc_co_u32_e32 v1, vcc, v3, v1, vcc
	v_add_f32_e32 v7, v27, v36
	global_store_dwordx2 v[4:5], v[8:9], off offset:384
	global_store_dwordx2 v[4:5], v[6:7], off offset:1280
	;; [unrolled: 1-line block ×7, first 2 shown]
	v_add_co_u32_e32 v0, vcc, 0x1000, v0
	v_addc_co_u32_e32 v1, vcc, 0, v1, vcc
	global_store_dwordx2 v[0:1], v[30:31], off offset:832
	global_store_dwordx2 v[0:1], v[28:29], off offset:1728
.LBB0_13:
	s_endpgm
	.section	.rodata,"a",@progbits
	.p2align	6, 0x0
	.amdhsa_kernel fft_rtc_fwd_len784_factors_2_2_2_2_7_7_wgs_56_tpt_56_halfLds_sp_ip_CI_unitstride_sbrr_dirReg
		.amdhsa_group_segment_fixed_size 0
		.amdhsa_private_segment_fixed_size 0
		.amdhsa_kernarg_size 88
		.amdhsa_user_sgpr_count 6
		.amdhsa_user_sgpr_private_segment_buffer 1
		.amdhsa_user_sgpr_dispatch_ptr 0
		.amdhsa_user_sgpr_queue_ptr 0
		.amdhsa_user_sgpr_kernarg_segment_ptr 1
		.amdhsa_user_sgpr_dispatch_id 0
		.amdhsa_user_sgpr_flat_scratch_init 0
		.amdhsa_user_sgpr_private_segment_size 0
		.amdhsa_uses_dynamic_stack 0
		.amdhsa_system_sgpr_private_segment_wavefront_offset 0
		.amdhsa_system_sgpr_workgroup_id_x 1
		.amdhsa_system_sgpr_workgroup_id_y 0
		.amdhsa_system_sgpr_workgroup_id_z 0
		.amdhsa_system_sgpr_workgroup_info 0
		.amdhsa_system_vgpr_workitem_id 0
		.amdhsa_next_free_vgpr 58
		.amdhsa_next_free_sgpr 22
		.amdhsa_reserve_vcc 1
		.amdhsa_reserve_flat_scratch 0
		.amdhsa_float_round_mode_32 0
		.amdhsa_float_round_mode_16_64 0
		.amdhsa_float_denorm_mode_32 3
		.amdhsa_float_denorm_mode_16_64 3
		.amdhsa_dx10_clamp 1
		.amdhsa_ieee_mode 1
		.amdhsa_fp16_overflow 0
		.amdhsa_exception_fp_ieee_invalid_op 0
		.amdhsa_exception_fp_denorm_src 0
		.amdhsa_exception_fp_ieee_div_zero 0
		.amdhsa_exception_fp_ieee_overflow 0
		.amdhsa_exception_fp_ieee_underflow 0
		.amdhsa_exception_fp_ieee_inexact 0
		.amdhsa_exception_int_div_zero 0
	.end_amdhsa_kernel
	.text
.Lfunc_end0:
	.size	fft_rtc_fwd_len784_factors_2_2_2_2_7_7_wgs_56_tpt_56_halfLds_sp_ip_CI_unitstride_sbrr_dirReg, .Lfunc_end0-fft_rtc_fwd_len784_factors_2_2_2_2_7_7_wgs_56_tpt_56_halfLds_sp_ip_CI_unitstride_sbrr_dirReg
                                        ; -- End function
	.section	.AMDGPU.csdata,"",@progbits
; Kernel info:
; codeLenInByte = 7212
; NumSgprs: 26
; NumVgprs: 58
; ScratchSize: 0
; MemoryBound: 0
; FloatMode: 240
; IeeeMode: 1
; LDSByteSize: 0 bytes/workgroup (compile time only)
; SGPRBlocks: 3
; VGPRBlocks: 14
; NumSGPRsForWavesPerEU: 26
; NumVGPRsForWavesPerEU: 58
; Occupancy: 4
; WaveLimiterHint : 1
; COMPUTE_PGM_RSRC2:SCRATCH_EN: 0
; COMPUTE_PGM_RSRC2:USER_SGPR: 6
; COMPUTE_PGM_RSRC2:TRAP_HANDLER: 0
; COMPUTE_PGM_RSRC2:TGID_X_EN: 1
; COMPUTE_PGM_RSRC2:TGID_Y_EN: 0
; COMPUTE_PGM_RSRC2:TGID_Z_EN: 0
; COMPUTE_PGM_RSRC2:TIDIG_COMP_CNT: 0
	.type	__hip_cuid_747266a5cba2f466,@object ; @__hip_cuid_747266a5cba2f466
	.section	.bss,"aw",@nobits
	.globl	__hip_cuid_747266a5cba2f466
__hip_cuid_747266a5cba2f466:
	.byte	0                               ; 0x0
	.size	__hip_cuid_747266a5cba2f466, 1

	.ident	"AMD clang version 19.0.0git (https://github.com/RadeonOpenCompute/llvm-project roc-6.4.0 25133 c7fe45cf4b819c5991fe208aaa96edf142730f1d)"
	.section	".note.GNU-stack","",@progbits
	.addrsig
	.addrsig_sym __hip_cuid_747266a5cba2f466
	.amdgpu_metadata
---
amdhsa.kernels:
  - .args:
      - .actual_access:  read_only
        .address_space:  global
        .offset:         0
        .size:           8
        .value_kind:     global_buffer
      - .offset:         8
        .size:           8
        .value_kind:     by_value
      - .actual_access:  read_only
        .address_space:  global
        .offset:         16
        .size:           8
        .value_kind:     global_buffer
      - .actual_access:  read_only
        .address_space:  global
        .offset:         24
        .size:           8
        .value_kind:     global_buffer
      - .offset:         32
        .size:           8
        .value_kind:     by_value
      - .actual_access:  read_only
        .address_space:  global
        .offset:         40
        .size:           8
        .value_kind:     global_buffer
      - .actual_access:  read_only
        .address_space:  global
        .offset:         48
        .size:           8
        .value_kind:     global_buffer
      - .offset:         56
        .size:           4
        .value_kind:     by_value
      - .actual_access:  read_only
        .address_space:  global
        .offset:         64
        .size:           8
        .value_kind:     global_buffer
      - .actual_access:  read_only
        .address_space:  global
        .offset:         72
        .size:           8
        .value_kind:     global_buffer
      - .address_space:  global
        .offset:         80
        .size:           8
        .value_kind:     global_buffer
    .group_segment_fixed_size: 0
    .kernarg_segment_align: 8
    .kernarg_segment_size: 88
    .language:       OpenCL C
    .language_version:
      - 2
      - 0
    .max_flat_workgroup_size: 56
    .name:           fft_rtc_fwd_len784_factors_2_2_2_2_7_7_wgs_56_tpt_56_halfLds_sp_ip_CI_unitstride_sbrr_dirReg
    .private_segment_fixed_size: 0
    .sgpr_count:     26
    .sgpr_spill_count: 0
    .symbol:         fft_rtc_fwd_len784_factors_2_2_2_2_7_7_wgs_56_tpt_56_halfLds_sp_ip_CI_unitstride_sbrr_dirReg.kd
    .uniform_work_group_size: 1
    .uses_dynamic_stack: false
    .vgpr_count:     58
    .vgpr_spill_count: 0
    .wavefront_size: 64
amdhsa.target:   amdgcn-amd-amdhsa--gfx906
amdhsa.version:
  - 1
  - 2
...

	.end_amdgpu_metadata
